;; amdgpu-corpus repo=ROCm/rocFFT kind=compiled arch=gfx906 opt=O3
	.text
	.amdgcn_target "amdgcn-amd-amdhsa--gfx906"
	.amdhsa_code_object_version 6
	.protected	fft_rtc_back_len2560_factors_4_4_4_10_4_wgs_128_tpt_128_halfLds_sp_ip_CI_unitstride_sbrr_C2R_dirReg ; -- Begin function fft_rtc_back_len2560_factors_4_4_4_10_4_wgs_128_tpt_128_halfLds_sp_ip_CI_unitstride_sbrr_C2R_dirReg
	.globl	fft_rtc_back_len2560_factors_4_4_4_10_4_wgs_128_tpt_128_halfLds_sp_ip_CI_unitstride_sbrr_C2R_dirReg
	.p2align	8
	.type	fft_rtc_back_len2560_factors_4_4_4_10_4_wgs_128_tpt_128_halfLds_sp_ip_CI_unitstride_sbrr_C2R_dirReg,@function
fft_rtc_back_len2560_factors_4_4_4_10_4_wgs_128_tpt_128_halfLds_sp_ip_CI_unitstride_sbrr_C2R_dirReg: ; @fft_rtc_back_len2560_factors_4_4_4_10_4_wgs_128_tpt_128_halfLds_sp_ip_CI_unitstride_sbrr_C2R_dirReg
; %bb.0:
	s_load_dwordx4 s[8:11], s[4:5], 0x0
	s_load_dwordx2 s[2:3], s[4:5], 0x50
	s_load_dwordx2 s[12:13], s[4:5], 0x18
	v_mov_b32_e32 v3, 0
	v_mov_b32_e32 v1, 0
	s_waitcnt lgkmcnt(0)
	v_cmp_lt_u64_e64 s[0:1], s[10:11], 2
	v_mov_b32_e32 v5, s6
	v_mov_b32_e32 v6, v3
	s_and_b64 vcc, exec, s[0:1]
	v_mov_b32_e32 v2, 0
	s_cbranch_vccnz .LBB0_8
; %bb.1:
	s_load_dwordx2 s[0:1], s[4:5], 0x10
	s_add_u32 s6, s12, 8
	s_addc_u32 s7, s13, 0
	v_mov_b32_e32 v1, 0
	v_mov_b32_e32 v2, 0
	s_waitcnt lgkmcnt(0)
	s_add_u32 s14, s0, 8
	s_addc_u32 s15, s1, 0
	s_mov_b64 s[16:17], 1
.LBB0_2:                                ; =>This Inner Loop Header: Depth=1
	s_load_dwordx2 s[18:19], s[14:15], 0x0
                                        ; implicit-def: $vgpr7_vgpr8
	s_waitcnt lgkmcnt(0)
	v_or_b32_e32 v4, s19, v6
	v_cmp_ne_u64_e32 vcc, 0, v[3:4]
	s_and_saveexec_b64 s[0:1], vcc
	s_xor_b64 s[20:21], exec, s[0:1]
	s_cbranch_execz .LBB0_4
; %bb.3:                                ;   in Loop: Header=BB0_2 Depth=1
	v_cvt_f32_u32_e32 v4, s18
	v_cvt_f32_u32_e32 v7, s19
	s_sub_u32 s0, 0, s18
	s_subb_u32 s1, 0, s19
	v_mac_f32_e32 v4, 0x4f800000, v7
	v_rcp_f32_e32 v4, v4
	v_mul_f32_e32 v4, 0x5f7ffffc, v4
	v_mul_f32_e32 v7, 0x2f800000, v4
	v_trunc_f32_e32 v7, v7
	v_mac_f32_e32 v4, 0xcf800000, v7
	v_cvt_u32_f32_e32 v7, v7
	v_cvt_u32_f32_e32 v4, v4
	v_mul_lo_u32 v8, s0, v7
	v_mul_hi_u32 v9, s0, v4
	v_mul_lo_u32 v11, s1, v4
	v_mul_lo_u32 v10, s0, v4
	v_add_u32_e32 v8, v9, v8
	v_add_u32_e32 v8, v8, v11
	v_mul_hi_u32 v9, v4, v10
	v_mul_lo_u32 v11, v4, v8
	v_mul_hi_u32 v13, v4, v8
	v_mul_hi_u32 v12, v7, v10
	v_mul_lo_u32 v10, v7, v10
	v_mul_hi_u32 v14, v7, v8
	v_add_co_u32_e32 v9, vcc, v9, v11
	v_addc_co_u32_e32 v11, vcc, 0, v13, vcc
	v_mul_lo_u32 v8, v7, v8
	v_add_co_u32_e32 v9, vcc, v9, v10
	v_addc_co_u32_e32 v9, vcc, v11, v12, vcc
	v_addc_co_u32_e32 v10, vcc, 0, v14, vcc
	v_add_co_u32_e32 v8, vcc, v9, v8
	v_addc_co_u32_e32 v9, vcc, 0, v10, vcc
	v_add_co_u32_e32 v4, vcc, v4, v8
	v_addc_co_u32_e32 v7, vcc, v7, v9, vcc
	v_mul_lo_u32 v8, s0, v7
	v_mul_hi_u32 v9, s0, v4
	v_mul_lo_u32 v10, s1, v4
	v_mul_lo_u32 v11, s0, v4
	v_add_u32_e32 v8, v9, v8
	v_add_u32_e32 v8, v8, v10
	v_mul_lo_u32 v12, v4, v8
	v_mul_hi_u32 v13, v4, v11
	v_mul_hi_u32 v14, v4, v8
	;; [unrolled: 1-line block ×3, first 2 shown]
	v_mul_lo_u32 v11, v7, v11
	v_mul_hi_u32 v9, v7, v8
	v_add_co_u32_e32 v12, vcc, v13, v12
	v_addc_co_u32_e32 v13, vcc, 0, v14, vcc
	v_mul_lo_u32 v8, v7, v8
	v_add_co_u32_e32 v11, vcc, v12, v11
	v_addc_co_u32_e32 v10, vcc, v13, v10, vcc
	v_addc_co_u32_e32 v9, vcc, 0, v9, vcc
	v_add_co_u32_e32 v8, vcc, v10, v8
	v_addc_co_u32_e32 v9, vcc, 0, v9, vcc
	v_add_co_u32_e32 v4, vcc, v4, v8
	v_addc_co_u32_e32 v9, vcc, v7, v9, vcc
	v_mad_u64_u32 v[7:8], s[0:1], v5, v9, 0
	v_mul_hi_u32 v10, v5, v4
	v_add_co_u32_e32 v11, vcc, v10, v7
	v_addc_co_u32_e32 v12, vcc, 0, v8, vcc
	v_mad_u64_u32 v[7:8], s[0:1], v6, v4, 0
	v_mad_u64_u32 v[9:10], s[0:1], v6, v9, 0
	v_add_co_u32_e32 v4, vcc, v11, v7
	v_addc_co_u32_e32 v4, vcc, v12, v8, vcc
	v_addc_co_u32_e32 v7, vcc, 0, v10, vcc
	v_add_co_u32_e32 v4, vcc, v4, v9
	v_addc_co_u32_e32 v9, vcc, 0, v7, vcc
	v_mul_lo_u32 v10, s19, v4
	v_mul_lo_u32 v11, s18, v9
	v_mad_u64_u32 v[7:8], s[0:1], s18, v4, 0
	v_add3_u32 v8, v8, v11, v10
	v_sub_u32_e32 v10, v6, v8
	v_mov_b32_e32 v11, s19
	v_sub_co_u32_e32 v7, vcc, v5, v7
	v_subb_co_u32_e64 v10, s[0:1], v10, v11, vcc
	v_subrev_co_u32_e64 v11, s[0:1], s18, v7
	v_subbrev_co_u32_e64 v10, s[0:1], 0, v10, s[0:1]
	v_cmp_le_u32_e64 s[0:1], s19, v10
	v_cndmask_b32_e64 v12, 0, -1, s[0:1]
	v_cmp_le_u32_e64 s[0:1], s18, v11
	v_cndmask_b32_e64 v11, 0, -1, s[0:1]
	v_cmp_eq_u32_e64 s[0:1], s19, v10
	v_cndmask_b32_e64 v10, v12, v11, s[0:1]
	v_add_co_u32_e64 v11, s[0:1], 2, v4
	v_addc_co_u32_e64 v12, s[0:1], 0, v9, s[0:1]
	v_add_co_u32_e64 v13, s[0:1], 1, v4
	v_addc_co_u32_e64 v14, s[0:1], 0, v9, s[0:1]
	v_subb_co_u32_e32 v8, vcc, v6, v8, vcc
	v_cmp_ne_u32_e64 s[0:1], 0, v10
	v_cmp_le_u32_e32 vcc, s19, v8
	v_cndmask_b32_e64 v10, v14, v12, s[0:1]
	v_cndmask_b32_e64 v12, 0, -1, vcc
	v_cmp_le_u32_e32 vcc, s18, v7
	v_cndmask_b32_e64 v7, 0, -1, vcc
	v_cmp_eq_u32_e32 vcc, s19, v8
	v_cndmask_b32_e32 v7, v12, v7, vcc
	v_cmp_ne_u32_e32 vcc, 0, v7
	v_cndmask_b32_e64 v7, v13, v11, s[0:1]
	v_cndmask_b32_e32 v8, v9, v10, vcc
	v_cndmask_b32_e32 v7, v4, v7, vcc
.LBB0_4:                                ;   in Loop: Header=BB0_2 Depth=1
	s_andn2_saveexec_b64 s[0:1], s[20:21]
	s_cbranch_execz .LBB0_6
; %bb.5:                                ;   in Loop: Header=BB0_2 Depth=1
	v_cvt_f32_u32_e32 v4, s18
	s_sub_i32 s20, 0, s18
	v_rcp_iflag_f32_e32 v4, v4
	v_mul_f32_e32 v4, 0x4f7ffffe, v4
	v_cvt_u32_f32_e32 v4, v4
	v_mul_lo_u32 v7, s20, v4
	v_mul_hi_u32 v7, v4, v7
	v_add_u32_e32 v4, v4, v7
	v_mul_hi_u32 v4, v5, v4
	v_mul_lo_u32 v7, v4, s18
	v_add_u32_e32 v8, 1, v4
	v_sub_u32_e32 v7, v5, v7
	v_subrev_u32_e32 v9, s18, v7
	v_cmp_le_u32_e32 vcc, s18, v7
	v_cndmask_b32_e32 v7, v7, v9, vcc
	v_cndmask_b32_e32 v4, v4, v8, vcc
	v_add_u32_e32 v8, 1, v4
	v_cmp_le_u32_e32 vcc, s18, v7
	v_cndmask_b32_e32 v7, v4, v8, vcc
	v_mov_b32_e32 v8, v3
.LBB0_6:                                ;   in Loop: Header=BB0_2 Depth=1
	s_or_b64 exec, exec, s[0:1]
	v_mul_lo_u32 v4, v8, s18
	v_mul_lo_u32 v11, v7, s19
	v_mad_u64_u32 v[9:10], s[0:1], v7, s18, 0
	s_load_dwordx2 s[0:1], s[6:7], 0x0
	s_add_u32 s16, s16, 1
	v_add3_u32 v4, v10, v11, v4
	v_sub_co_u32_e32 v5, vcc, v5, v9
	v_subb_co_u32_e32 v4, vcc, v6, v4, vcc
	s_waitcnt lgkmcnt(0)
	v_mul_lo_u32 v4, s0, v4
	v_mul_lo_u32 v6, s1, v5
	v_mad_u64_u32 v[1:2], s[0:1], s0, v5, v[1:2]
	s_addc_u32 s17, s17, 0
	s_add_u32 s6, s6, 8
	v_add3_u32 v2, v6, v2, v4
	v_mov_b32_e32 v4, s10
	v_mov_b32_e32 v5, s11
	s_addc_u32 s7, s7, 0
	v_cmp_ge_u64_e32 vcc, s[16:17], v[4:5]
	s_add_u32 s14, s14, 8
	s_addc_u32 s15, s15, 0
	s_cbranch_vccnz .LBB0_9
; %bb.7:                                ;   in Loop: Header=BB0_2 Depth=1
	v_mov_b32_e32 v5, v7
	v_mov_b32_e32 v6, v8
	s_branch .LBB0_2
.LBB0_8:
	v_mov_b32_e32 v8, v6
	v_mov_b32_e32 v7, v5
.LBB0_9:
	s_lshl_b64 s[0:1], s[10:11], 3
	s_add_u32 s0, s12, s0
	s_addc_u32 s1, s13, s1
	s_load_dwordx2 s[6:7], s[0:1], 0x0
	s_load_dwordx2 s[10:11], s[4:5], 0x20
	s_waitcnt lgkmcnt(0)
	v_mul_lo_u32 v3, s6, v8
	v_mul_lo_u32 v4, s7, v7
	v_mad_u64_u32 v[1:2], s[0:1], s6, v7, v[1:2]
	v_cmp_gt_u64_e64 s[0:1], s[10:11], v[7:8]
	v_add3_u32 v2, v4, v2, v3
	v_lshlrev_b64 v[1:2], 3, v[1:2]
	v_mov_b32_e32 v3, v0
	s_and_saveexec_b64 s[4:5], s[0:1]
	s_cbranch_execz .LBB0_13
; %bb.10:
	v_mov_b32_e32 v3, s3
	v_add_co_u32_e32 v5, vcc, s2, v1
	v_addc_co_u32_e32 v4, vcc, v3, v2, vcc
	v_lshlrev_b32_e32 v3, 3, v0
	v_add_co_u32_e32 v6, vcc, v5, v3
	v_addc_co_u32_e32 v7, vcc, 0, v4, vcc
	global_load_dwordx2 v[8:9], v[6:7], off
	global_load_dwordx2 v[10:11], v[6:7], off offset:1024
	global_load_dwordx2 v[12:13], v[6:7], off offset:2048
	;; [unrolled: 1-line block ×3, first 2 shown]
	v_or_b32_e32 v6, 0x1000, v3
	v_add_co_u32_e32 v6, vcc, v5, v6
	v_addc_co_u32_e32 v7, vcc, 0, v4, vcc
	v_or_b32_e32 v16, 0x1400, v3
	v_add_co_u32_e32 v16, vcc, v5, v16
	v_addc_co_u32_e32 v17, vcc, 0, v4, vcc
	;; [unrolled: 3-line block ×6, first 2 shown]
	v_or_b32_e32 v54, 0x1c00, v3
	v_add_co_u32_e32 v26, vcc, v5, v54
	v_or_b32_e32 v28, 0x2c00, v3
	v_addc_co_u32_e32 v27, vcc, 0, v4, vcc
	v_add_co_u32_e32 v28, vcc, v5, v28
	v_or_b32_e32 v38, 0x3000, v3
	v_addc_co_u32_e32 v29, vcc, 0, v4, vcc
	global_load_dwordx2 v[30:31], v[6:7], off
	global_load_dwordx2 v[32:33], v[16:17], off
	;; [unrolled: 1-line block ×4, first 2 shown]
	v_add_co_u32_e32 v6, vcc, v5, v38
	v_or_b32_e32 v39, 0x3400, v3
	v_addc_co_u32_e32 v7, vcc, 0, v4, vcc
	v_add_co_u32_e32 v16, vcc, v5, v39
	v_or_b32_e32 v40, 0x3800, v3
	v_addc_co_u32_e32 v17, vcc, 0, v4, vcc
	;; [unrolled: 3-line block ×3, first 2 shown]
	global_load_dwordx2 v[26:27], v[20:21], off
	global_load_dwordx2 v[38:39], v[22:23], off
	;; [unrolled: 1-line block ×4, first 2 shown]
	v_add_co_u32_e32 v20, vcc, v5, v55
	v_addc_co_u32_e32 v21, vcc, 0, v4, vcc
	global_load_dwordx2 v[22:23], v[6:7], off
	global_load_dwordx2 v[24:25], v[16:17], off
	;; [unrolled: 1-line block ×4, first 2 shown]
	v_or_b32_e32 v6, 0x4000, v3
	v_add_co_u32_e32 v6, vcc, v5, v6
	v_addc_co_u32_e32 v7, vcc, 0, v4, vcc
	v_or_b32_e32 v16, 0x4400, v3
	v_add_co_u32_e32 v16, vcc, v5, v16
	v_addc_co_u32_e32 v17, vcc, 0, v4, vcc
	;; [unrolled: 3-line block ×4, first 2 shown]
	global_load_dwordx2 v[46:47], v[6:7], off
	global_load_dwordx2 v[48:49], v[16:17], off
	;; [unrolled: 1-line block ×4, first 2 shown]
	v_add_u32_e32 v3, 0, v3
	v_add_u32_e32 v6, 0, v54
	s_movk_i32 s6, 0x7f
	v_cmp_eq_u32_e32 vcc, s6, v0
	s_waitcnt vmcnt(18)
	ds_write2st64_b64 v3, v[8:9], v[10:11] offset1:2
	s_waitcnt vmcnt(16)
	ds_write2st64_b64 v3, v[12:13], v[14:15] offset0:4 offset1:6
	s_waitcnt vmcnt(14)
	ds_write2st64_b64 v3, v[30:31], v[32:33] offset0:8 offset1:10
	;; [unrolled: 2-line block ×4, first 2 shown]
	ds_write_b64 v6, v[36:37]
	s_waitcnt vmcnt(7)
	ds_write2st64_b64 v3, v[42:43], v[22:23] offset0:22 offset1:24
	s_waitcnt vmcnt(5)
	ds_write2st64_b64 v3, v[24:25], v[28:29] offset0:26 offset1:28
	v_add_u32_e32 v6, 0, v55
	s_waitcnt vmcnt(4)
	ds_write_b64 v6, v[44:45]
	s_waitcnt vmcnt(2)
	ds_write2st64_b64 v3, v[46:47], v[48:49] offset0:32 offset1:34
	s_waitcnt vmcnt(0)
	ds_write2st64_b64 v3, v[50:51], v[52:53] offset0:36 offset1:38
	v_mov_b32_e32 v3, v0
	s_and_saveexec_b64 s[6:7], vcc
	s_cbranch_execz .LBB0_12
; %bb.11:
	v_add_co_u32_e32 v3, vcc, 0x5000, v5
	v_addc_co_u32_e32 v4, vcc, 0, v4, vcc
	global_load_dwordx2 v[3:4], v[3:4], off
	v_mov_b32_e32 v5, 0
	s_waitcnt vmcnt(0)
	ds_write_b64 v5, v[3:4] offset:20480
	v_mov_b32_e32 v3, 0x7f
.LBB0_12:
	s_or_b64 exec, exec, s[6:7]
.LBB0_13:
	s_or_b64 exec, exec, s[4:5]
	v_lshlrev_b32_e32 v11, 3, v3
	v_add_u32_e32 v9, 0, v11
	s_waitcnt lgkmcnt(0)
	s_barrier
	v_sub_u32_e32 v10, 0, v11
	ds_read_b32 v12, v9
	ds_read_b32 v13, v10 offset:20480
	s_add_u32 s4, s8, 0x4fe0
	s_addc_u32 s5, s9, 0
	v_cmp_ne_u32_e32 vcc, 0, v3
                                        ; implicit-def: $vgpr7_vgpr8
	s_waitcnt lgkmcnt(0)
	v_add_f32_e32 v5, v13, v12
	v_sub_f32_e32 v6, v12, v13
	s_and_saveexec_b64 s[6:7], vcc
	s_xor_b64 s[6:7], exec, s[6:7]
	s_cbranch_execz .LBB0_15
; %bb.14:
	global_load_dwordx2 v[7:8], v11, s[4:5]
	ds_read_b32 v5, v10 offset:20484
	ds_read_b32 v6, v9 offset:4
	v_add_f32_e32 v14, v13, v12
	v_sub_f32_e32 v15, v12, v13
	v_mov_b32_e32 v4, 0
	s_waitcnt lgkmcnt(0)
	v_add_f32_e32 v16, v5, v6
	v_sub_f32_e32 v5, v6, v5
	s_waitcnt vmcnt(0)
	v_fma_f32 v17, v15, v8, v14
	v_fma_f32 v6, v16, v8, v5
	v_fma_f32 v12, -v15, v8, v14
	v_fma_f32 v13, v16, v8, -v5
	v_fma_f32 v5, -v7, v16, v17
	v_fmac_f32_e32 v6, v15, v7
	v_fmac_f32_e32 v12, v7, v16
	;; [unrolled: 1-line block ×3, first 2 shown]
	v_mov_b32_e32 v8, v4
	ds_write_b64 v10, v[12:13] offset:20480
	v_mov_b32_e32 v7, v3
.LBB0_15:
	s_andn2_saveexec_b64 s[6:7], s[6:7]
	s_cbranch_execz .LBB0_17
; %bb.16:
	v_mov_b32_e32 v4, 0
	ds_read_b64 v[7:8], v4 offset:10240
	s_waitcnt lgkmcnt(0)
	v_add_f32_e32 v12, v7, v7
	v_mul_f32_e32 v13, -2.0, v8
	v_mov_b32_e32 v7, 0
	v_mov_b32_e32 v8, 0
	ds_write_b64 v4, v[12:13] offset:10240
.LBB0_17:
	s_or_b64 exec, exec, s[6:7]
	v_lshlrev_b64 v[7:8], 3, v[7:8]
	v_mov_b32_e32 v4, s5
	v_add_co_u32_e32 v7, vcc, s4, v7
	v_addc_co_u32_e32 v8, vcc, v4, v8, vcc
	global_load_dwordx2 v[12:13], v[7:8], off offset:1024
	global_load_dwordx2 v[14:15], v[7:8], off offset:2048
	;; [unrolled: 1-line block ×3, first 2 shown]
	v_or_b32_e32 v7, 0x200, v3
	v_lshlrev_b32_e32 v4, 3, v7
	global_load_dwordx2 v[18:19], v4, s[4:5]
	ds_write_b64 v9, v[5:6]
	v_or_b32_e32 v6, 0x1400, v11
	ds_read_b64 v[4:5], v9 offset:1024
	ds_read_b64 v[20:21], v10 offset:19456
	global_load_dwordx2 v[22:23], v6, s[4:5]
	v_lshlrev_b32_e32 v52, 2, v3
	v_lshrrev_b32_e32 v74, 6, v3
	v_mul_u32_u24_e32 v74, 0x280, v74
	s_waitcnt lgkmcnt(0)
	v_add_f32_e32 v6, v4, v20
	v_add_f32_e32 v8, v21, v5
	v_sub_f32_e32 v24, v4, v20
	v_sub_f32_e32 v4, v5, v21
	s_movk_i32 s6, 0x37e0
	s_waitcnt vmcnt(4)
	v_fma_f32 v25, v24, v13, v6
	v_fma_f32 v5, v8, v13, v4
	v_fma_f32 v20, -v24, v13, v6
	v_fma_f32 v21, v8, v13, -v4
	v_fma_f32 v4, -v12, v8, v25
	v_fmac_f32_e32 v5, v24, v12
	v_fmac_f32_e32 v20, v12, v8
	;; [unrolled: 1-line block ×3, first 2 shown]
	ds_write_b64 v9, v[4:5] offset:1024
	ds_write_b64 v10, v[20:21] offset:19456
	v_or_b32_e32 v6, 0x1800, v11
	ds_read_b64 v[4:5], v9 offset:2048
	ds_read_b64 v[12:13], v10 offset:18432
	global_load_dwordx2 v[20:21], v6, s[4:5]
	s_waitcnt lgkmcnt(0)
	v_add_f32_e32 v6, v4, v12
	v_add_f32_e32 v8, v13, v5
	v_sub_f32_e32 v24, v4, v12
	v_sub_f32_e32 v4, v5, v13
	s_waitcnt vmcnt(4)
	v_fma_f32 v25, v24, v15, v6
	v_fma_f32 v5, v8, v15, v4
	v_fma_f32 v12, -v24, v15, v6
	v_fma_f32 v13, v8, v15, -v4
	v_fma_f32 v4, -v14, v8, v25
	v_fmac_f32_e32 v5, v24, v14
	v_mov_b32_e32 v6, 0x1c00
	v_fmac_f32_e32 v12, v14, v8
	v_fmac_f32_e32 v13, v24, v14
	ds_write_b64 v9, v[4:5] offset:2048
	ds_write_b64 v10, v[12:13] offset:18432
	v_lshl_or_b32 v6, v0, 3, v6
	ds_read_b64 v[4:5], v9 offset:3072
	ds_read_b64 v[12:13], v10 offset:17408
	global_load_dwordx2 v[14:15], v6, s[4:5]
	v_add_u32_e32 v6, 0, v6
	s_waitcnt lgkmcnt(0)
	v_add_f32_e32 v8, v4, v12
	v_add_f32_e32 v24, v13, v5
	v_sub_f32_e32 v25, v4, v12
	v_sub_f32_e32 v4, v5, v13
	s_waitcnt vmcnt(4)
	v_fma_f32 v26, v25, v17, v8
	v_fma_f32 v5, v24, v17, v4
	v_fma_f32 v12, -v25, v17, v8
	v_fma_f32 v13, v24, v17, -v4
	v_fma_f32 v4, -v16, v24, v26
	v_fmac_f32_e32 v5, v25, v16
	v_fmac_f32_e32 v12, v16, v24
	;; [unrolled: 1-line block ×3, first 2 shown]
	ds_write_b64 v9, v[4:5] offset:3072
	ds_write_b64 v10, v[12:13] offset:17408
	v_or_b32_e32 v8, 0x2000, v11
	ds_read_b64 v[4:5], v9 offset:4096
	ds_read_b64 v[12:13], v10 offset:16384
	global_load_dwordx2 v[16:17], v8, s[4:5]
	s_waitcnt lgkmcnt(0)
	v_add_f32_e32 v8, v4, v12
	v_add_f32_e32 v24, v13, v5
	v_sub_f32_e32 v25, v4, v12
	v_sub_f32_e32 v4, v5, v13
	s_waitcnt vmcnt(4)
	v_fma_f32 v26, v25, v19, v8
	v_fma_f32 v5, v24, v19, v4
	v_fma_f32 v12, -v25, v19, v8
	v_fma_f32 v13, v24, v19, -v4
	v_fma_f32 v4, -v18, v24, v26
	v_fmac_f32_e32 v5, v25, v18
	v_fmac_f32_e32 v12, v18, v24
	;; [unrolled: 1-line block ×3, first 2 shown]
	ds_write_b64 v9, v[4:5] offset:4096
	ds_write_b64 v10, v[12:13] offset:16384
	v_or_b32_e32 v8, 0x2400, v11
	ds_read_b64 v[4:5], v9 offset:5120
	ds_read_b64 v[12:13], v10 offset:15360
	global_load_dwordx2 v[18:19], v8, s[4:5]
	s_movk_i32 s4, 0x1f0
	s_movk_i32 s5, 0x1fe0
	s_waitcnt lgkmcnt(0)
	v_add_f32_e32 v8, v4, v12
	v_add_f32_e32 v24, v13, v5
	v_sub_f32_e32 v25, v4, v12
	v_sub_f32_e32 v4, v5, v13
	s_waitcnt vmcnt(4)
	v_fma_f32 v13, v25, v23, v8
	v_fma_f32 v5, v24, v23, v4
	v_fma_f32 v11, -v25, v23, v8
	v_fma_f32 v12, v24, v23, -v4
	v_fma_f32 v4, -v22, v24, v13
	v_fmac_f32_e32 v5, v25, v22
	v_fmac_f32_e32 v11, v22, v24
	;; [unrolled: 1-line block ×3, first 2 shown]
	ds_write_b64 v9, v[4:5] offset:5120
	ds_write_b64 v10, v[11:12] offset:15360
	ds_read_b64 v[4:5], v9 offset:6144
	ds_read_b64 v[11:12], v10 offset:14336
	s_waitcnt lgkmcnt(0)
	v_add_f32_e32 v8, v4, v11
	v_add_f32_e32 v13, v12, v5
	v_sub_f32_e32 v22, v4, v11
	v_sub_f32_e32 v4, v5, v12
	s_waitcnt vmcnt(3)
	v_fma_f32 v23, v22, v21, v8
	v_fma_f32 v5, v13, v21, v4
	v_fma_f32 v11, -v22, v21, v8
	v_fma_f32 v12, v13, v21, -v4
	v_fma_f32 v4, -v20, v13, v23
	v_fmac_f32_e32 v5, v22, v20
	v_fmac_f32_e32 v11, v20, v13
	;; [unrolled: 1-line block ×3, first 2 shown]
	ds_write_b64 v9, v[4:5] offset:6144
	ds_write_b64 v10, v[11:12] offset:14336
	ds_read_b64 v[4:5], v6
	ds_read_b64 v[11:12], v10 offset:13312
	s_waitcnt lgkmcnt(0)
	v_add_f32_e32 v8, v4, v11
	v_add_f32_e32 v13, v12, v5
	v_sub_f32_e32 v20, v4, v11
	v_sub_f32_e32 v4, v5, v12
	s_waitcnt vmcnt(2)
	v_fma_f32 v21, v20, v15, v8
	v_fma_f32 v5, v13, v15, v4
	v_fma_f32 v11, -v20, v15, v8
	v_fma_f32 v12, v13, v15, -v4
	v_fma_f32 v4, -v14, v13, v21
	v_fmac_f32_e32 v5, v20, v14
	v_fmac_f32_e32 v11, v14, v13
	;; [unrolled: 1-line block ×3, first 2 shown]
	ds_write_b64 v6, v[4:5]
	ds_write_b64 v10, v[11:12] offset:13312
	ds_read_b64 v[4:5], v9 offset:8192
	ds_read_b64 v[11:12], v10 offset:12288
	s_waitcnt lgkmcnt(0)
	v_add_f32_e32 v6, v4, v11
	v_add_f32_e32 v8, v12, v5
	v_sub_f32_e32 v13, v4, v11
	v_sub_f32_e32 v12, v5, v12
	s_waitcnt vmcnt(1)
	v_fma_f32 v4, v13, v17, v6
	v_fma_f32 v5, v8, v17, v12
	v_fma_f32 v11, -v13, v17, v6
	v_fma_f32 v12, v8, v17, -v12
	v_fma_f32 v4, -v16, v8, v4
	v_fmac_f32_e32 v5, v13, v16
	v_fmac_f32_e32 v11, v16, v8
	v_fmac_f32_e32 v12, v13, v16
	ds_write_b64 v9, v[4:5] offset:8192
	ds_write_b64 v10, v[11:12] offset:12288
	ds_read_b64 v[4:5], v9 offset:9216
	ds_read_b64 v[11:12], v10 offset:11264
	s_waitcnt lgkmcnt(0)
	v_add_f32_e32 v6, v4, v11
	v_add_f32_e32 v8, v12, v5
	v_sub_f32_e32 v11, v4, v11
	v_sub_f32_e32 v12, v5, v12
	s_waitcnt vmcnt(0)
	v_fma_f32 v4, v11, v19, v6
	v_fma_f32 v5, v8, v19, v12
	v_fma_f32 v4, -v18, v8, v4
	v_fmac_f32_e32 v5, v11, v18
	ds_write_b64 v9, v[4:5] offset:9216
	v_fma_f32 v4, -v11, v19, v6
	v_fma_f32 v5, v8, v19, -v12
	v_fmac_f32_e32 v4, v18, v8
	v_fmac_f32_e32 v5, v11, v18
	ds_write_b64 v10, v[4:5] offset:11264
	s_waitcnt lgkmcnt(0)
	s_barrier
	s_barrier
	ds_read2st64_b64 v[10:13], v9 offset1:2
	ds_read2st64_b64 v[14:17], v9 offset0:20 offset1:22
	ds_read2st64_b64 v[18:21], v9 offset0:8 offset1:10
	ds_read2st64_b64 v[22:25], v9 offset0:28 offset1:30
	s_waitcnt lgkmcnt(2)
	v_sub_f32_e32 v6, v10, v14
	v_sub_f32_e32 v8, v11, v15
	s_waitcnt lgkmcnt(0)
	v_sub_f32_e32 v15, v20, v24
	v_sub_f32_e32 v14, v21, v25
	v_fma_f32 v10, v10, 2.0, -v6
	v_fma_f32 v11, v11, 2.0, -v8
	;; [unrolled: 1-line block ×4, first 2 shown]
	v_sub_f32_e32 v4, v10, v4
	v_sub_f32_e32 v5, v11, v5
	v_add_f32_e32 v14, v6, v14
	v_sub_f32_e32 v15, v8, v15
	v_fma_f32 v10, v10, 2.0, -v4
	v_fma_f32 v11, v11, 2.0, -v5
	;; [unrolled: 1-line block ×4, first 2 shown]
	v_mad_u32_u24 v6, v3, 24, v9
	ds_read2st64_b64 v[24:27], v9 offset0:12 offset1:14
	ds_read2st64_b64 v[28:31], v9 offset0:32 offset1:34
	;; [unrolled: 1-line block ×6, first 2 shown]
	s_waitcnt lgkmcnt(0)
	s_barrier
	ds_write2_b64 v6, v[10:11], v[20:21] offset1:1
	ds_write2_b64 v6, v[4:5], v[14:15] offset0:2 offset1:3
	v_sub_f32_e32 v4, v12, v16
	v_sub_f32_e32 v8, v13, v17
	v_fma_f32 v10, v12, 2.0, -v4
	v_fma_f32 v11, v13, 2.0, -v8
	v_sub_f32_e32 v13, v24, v28
	v_sub_f32_e32 v12, v25, v29
	v_fma_f32 v5, v24, 2.0, -v13
	v_fma_f32 v6, v25, 2.0, -v12
	v_add_f32_e32 v12, v4, v12
	v_sub_f32_e32 v5, v10, v5
	v_sub_f32_e32 v6, v11, v6
	;; [unrolled: 1-line block ×3, first 2 shown]
	v_fma_f32 v14, v4, 2.0, -v12
	v_or_b32_e32 v4, 0x80, v3
	v_fma_f32 v10, v10, 2.0, -v5
	v_fma_f32 v11, v11, 2.0, -v6
	;; [unrolled: 1-line block ×3, first 2 shown]
	v_lshl_add_u32 v8, v4, 5, 0
	ds_write2_b64 v8, v[10:11], v[14:15] offset1:1
	ds_write2_b64 v8, v[5:6], v[12:13] offset0:2 offset1:3
	v_sub_f32_e32 v8, v26, v30
	v_sub_f32_e32 v12, v27, v31
	;; [unrolled: 1-line block ×4, first 2 shown]
	v_fma_f32 v5, v26, 2.0, -v8
	v_fma_f32 v6, v27, 2.0, -v12
	;; [unrolled: 1-line block ×4, first 2 shown]
	v_sub_f32_e32 v5, v10, v5
	v_sub_f32_e32 v6, v11, v6
	v_add_f32_e32 v12, v14, v12
	v_sub_f32_e32 v13, v15, v8
	v_or_b32_e32 v8, 0x100, v3
	v_fma_f32 v10, v10, 2.0, -v5
	v_fma_f32 v11, v11, 2.0, -v6
	;; [unrolled: 1-line block ×4, first 2 shown]
	v_lshl_add_u32 v16, v8, 5, 0
	ds_write2_b64 v16, v[10:11], v[14:15] offset1:1
	ds_write2_b64 v16, v[5:6], v[12:13] offset0:2 offset1:3
	v_sub_f32_e32 v14, v34, v38
	v_sub_f32_e32 v15, v35, v39
	;; [unrolled: 1-line block ×4, first 2 shown]
	v_fma_f32 v10, v34, 2.0, -v14
	v_fma_f32 v11, v35, 2.0, -v15
	v_sub_f32_e32 v22, v18, v22
	v_sub_f32_e32 v23, v19, v23
	v_fma_f32 v5, v40, 2.0, -v13
	v_sub_f32_e32 v21, v42, v46
	v_sub_f32_e32 v20, v43, v47
	v_fma_f32 v6, v41, 2.0, -v12
	v_or_b32_e32 v34, 0x180, v3
	v_fma_f32 v18, v18, 2.0, -v22
	v_fma_f32 v19, v19, 2.0, -v23
	v_sub_f32_e32 v5, v10, v5
	v_sub_f32_e32 v6, v11, v6
	v_add_f32_e32 v12, v14, v12
	v_sub_f32_e32 v13, v15, v13
	v_fma_f32 v16, v42, 2.0, -v21
	v_fma_f32 v17, v43, 2.0, -v20
	;; [unrolled: 1-line block ×6, first 2 shown]
	v_sub_f32_e32 v16, v18, v16
	v_sub_f32_e32 v17, v19, v17
	v_add_f32_e32 v20, v22, v20
	v_sub_f32_e32 v21, v23, v21
	v_lshl_add_u32 v24, v34, 5, 0
	v_fma_f32 v18, v18, 2.0, -v16
	v_fma_f32 v19, v19, 2.0, -v17
	;; [unrolled: 1-line block ×4, first 2 shown]
	ds_write2_b64 v24, v[10:11], v[14:15] offset1:1
	ds_write2_b64 v24, v[5:6], v[12:13] offset0:2 offset1:3
	v_lshl_add_u32 v5, v7, 5, 0
	v_and_b32_e32 v35, 3, v0
	ds_write2_b64 v5, v[18:19], v[22:23] offset1:1
	ds_write2_b64 v5, v[16:17], v[20:21] offset0:2 offset1:3
	v_mul_u32_u24_e32 v5, 3, v35
	v_lshlrev_b32_e32 v14, 3, v5
	s_waitcnt lgkmcnt(0)
	s_barrier
	global_load_dwordx4 v[10:13], v14, s[8:9]
	global_load_dwordx2 v[5:6], v14, s[8:9] offset:16
	ds_read2st64_b64 v[14:17], v9 offset0:22 offset1:24
	ds_read2st64_b64 v[18:21], v9 offset0:14 offset1:16
	v_and_or_b32 v53, v52, s4, v35
	v_lshl_add_u32 v53, v53, 3, 0
	s_movk_i32 s4, 0x3f0
	s_waitcnt vmcnt(1) lgkmcnt(1)
	v_mul_f32_e32 v36, v15, v13
	v_fmac_f32_e32 v36, v14, v12
	v_mul_f32_e32 v14, v14, v13
	v_fma_f32 v37, v15, v12, -v14
	s_waitcnt lgkmcnt(0)
	v_mul_f32_e32 v14, v18, v11
	v_fma_f32 v39, v19, v10, -v14
	v_mul_f32_e32 v40, v17, v13
	v_mul_f32_e32 v14, v16, v13
	v_fmac_f32_e32 v40, v16, v12
	v_fma_f32 v41, v17, v12, -v14
	ds_read2st64_b64 v[14:17], v9 offset0:18 offset1:20
	v_mul_f32_e32 v38, v19, v11
	v_fmac_f32_e32 v38, v18, v10
	v_mul_f32_e32 v18, v20, v11
	v_fma_f32 v43, v21, v10, -v18
	s_waitcnt lgkmcnt(0)
	v_mul_f32_e32 v24, v13, v17
	v_fmac_f32_e32 v24, v12, v16
	v_mul_f32_e32 v16, v13, v16
	v_fma_f32 v25, v12, v17, -v16
	ds_read2st64_b64 v[16:19], v9 offset0:26 offset1:28
	v_mul_f32_e32 v44, v15, v11
	v_fmac_f32_e32 v44, v14, v10
	v_mul_f32_e32 v14, v14, v11
	v_fma_f32 v45, v15, v10, -v14
	s_waitcnt lgkmcnt(0)
	v_mul_f32_e32 v14, v16, v13
	v_mul_f32_e32 v46, v17, v13
	v_fma_f32 v47, v17, v12, -v14
	v_add_u32_e32 v14, 0x1800, v9
	v_fmac_f32_e32 v46, v16, v12
	ds_read2_b32 v[16:17], v14 offset1:1
	v_mul_f32_e32 v48, v19, v13
	v_mul_f32_e32 v13, v18, v13
	v_fmac_f32_e32 v48, v18, v12
	v_fma_f32 v49, v19, v12, -v13
	s_waitcnt lgkmcnt(0)
	v_mul_f32_e32 v50, v17, v11
	ds_read2st64_b64 v[12:15], v9 offset0:8 offset1:10
	v_fmac_f32_e32 v50, v10, v16
	v_mul_f32_e32 v16, v11, v16
	v_fma_f32 v51, v17, v10, -v16
	ds_read2st64_b64 v[16:19], v9 offset0:30 offset1:32
	v_mul_f32_e32 v42, v21, v11
	v_fmac_f32_e32 v42, v20, v10
	ds_read2st64_b64 v[20:23], v9 offset1:2
	s_waitcnt lgkmcnt(2)
	v_mul_f32_e32 v26, v11, v15
	v_mul_f32_e32 v11, v11, v14
	v_fmac_f32_e32 v26, v10, v14
	v_fma_f32 v10, v10, v15, -v11
	s_waitcnt vmcnt(0) lgkmcnt(1)
	v_mul_f32_e32 v11, v6, v17
	v_mul_f32_e32 v14, v6, v16
	v_fmac_f32_e32 v11, v5, v16
	v_fma_f32 v14, v5, v17, -v14
	s_waitcnt lgkmcnt(0)
	v_sub_f32_e32 v15, v20, v24
	v_sub_f32_e32 v16, v21, v25
	;; [unrolled: 1-line block ×4, first 2 shown]
	v_fma_f32 v11, v26, 2.0, -v17
	v_fma_f32 v24, v10, 2.0, -v14
	v_fma_f32 v20, v20, 2.0, -v15
	v_fma_f32 v21, v21, 2.0, -v16
	v_sub_f32_e32 v10, v20, v11
	v_sub_f32_e32 v11, v21, v24
	v_add_f32_e32 v28, v15, v14
	v_sub_f32_e32 v29, v16, v17
	v_fma_f32 v20, v20, 2.0, -v10
	v_fma_f32 v21, v21, 2.0, -v11
	;; [unrolled: 1-line block ×4, first 2 shown]
	ds_read_b64 v[32:33], v9 offset:19456
	ds_read2st64_b64 v[14:17], v9 offset0:4 offset1:6
	ds_read2st64_b64 v[24:27], v9 offset0:34 offset1:36
	s_waitcnt lgkmcnt(0)
	s_barrier
	ds_write2_b64 v53, v[20:21], v[30:31] offset1:4
	ds_write2_b64 v53, v[10:11], v[28:29] offset0:8 offset1:12
	v_mul_f32_e32 v11, v18, v6
	v_mul_f32_e32 v10, v19, v6
	v_fma_f32 v11, v19, v5, -v11
	v_fmac_f32_e32 v10, v18, v5
	v_sub_f32_e32 v28, v22, v36
	v_sub_f32_e32 v20, v51, v11
	;; [unrolled: 1-line block ×4, first 2 shown]
	v_fma_f32 v11, v51, 2.0, -v20
	v_add_f32_e32 v20, v28, v20
	v_fma_f32 v18, v22, 2.0, -v28
	v_fma_f32 v19, v23, 2.0, -v29
	;; [unrolled: 1-line block ×3, first 2 shown]
	v_sub_f32_e32 v21, v29, v21
	v_fma_f32 v22, v28, 2.0, -v20
	v_lshlrev_b32_e32 v28, 2, v4
	v_sub_f32_e32 v10, v18, v10
	v_sub_f32_e32 v11, v19, v11
	v_fma_f32 v23, v29, 2.0, -v21
	v_and_or_b32 v29, v28, s4, v35
	v_fma_f32 v18, v18, 2.0, -v10
	v_fma_f32 v19, v19, 2.0, -v11
	v_lshl_add_u32 v29, v29, 3, 0
	ds_write2_b64 v29, v[18:19], v[22:23] offset1:4
	ds_write2_b64 v29, v[10:11], v[20:21] offset0:8 offset1:12
	v_mul_f32_e32 v10, v25, v6
	v_mul_f32_e32 v11, v24, v6
	v_fmac_f32_e32 v10, v24, v5
	v_fma_f32 v11, v25, v5, -v11
	v_sub_f32_e32 v20, v14, v40
	v_sub_f32_e32 v21, v15, v41
	;; [unrolled: 1-line block ×4, first 2 shown]
	v_fma_f32 v10, v38, 2.0, -v19
	v_fma_f32 v11, v39, 2.0, -v18
	v_fma_f32 v14, v14, 2.0, -v20
	v_fma_f32 v15, v15, 2.0, -v21
	v_lshlrev_b32_e32 v22, 2, v8
	s_movk_i32 s4, 0x5f0
	v_sub_f32_e32 v10, v14, v10
	v_sub_f32_e32 v11, v15, v11
	v_add_f32_e32 v18, v20, v18
	v_sub_f32_e32 v19, v21, v19
	v_and_or_b32 v8, v22, s4, v35
	v_fma_f32 v14, v14, 2.0, -v10
	v_fma_f32 v15, v15, 2.0, -v11
	;; [unrolled: 1-line block ×4, first 2 shown]
	v_lshl_add_u32 v8, v8, 3, 0
	ds_write2_b64 v8, v[14:15], v[20:21] offset1:4
	ds_write2_b64 v8, v[10:11], v[18:19] offset0:8 offset1:12
	v_mul_f32_e32 v8, v27, v6
	v_fmac_f32_e32 v8, v26, v5
	v_sub_f32_e32 v18, v16, v46
	v_sub_f32_e32 v19, v17, v47
	;; [unrolled: 1-line block ×3, first 2 shown]
	v_mul_f32_e32 v10, v26, v6
	v_mul_f32_e32 v14, v33, v6
	;; [unrolled: 1-line block ×3, first 2 shown]
	v_fma_f32 v11, v16, 2.0, -v18
	v_fma_f32 v16, v17, 2.0, -v19
	;; [unrolled: 1-line block ×3, first 2 shown]
	v_sub_f32_e32 v12, v42, v8
	v_fma_f32 v10, v27, v5, -v10
	v_fmac_f32_e32 v14, v32, v5
	v_fma_f32 v15, v33, v5, -v6
	v_fma_f32 v5, v42, 2.0, -v12
	v_sub_f32_e32 v10, v43, v10
	v_sub_f32_e32 v5, v11, v5
	;; [unrolled: 1-line block ×3, first 2 shown]
	v_lshlrev_b32_e32 v25, 2, v7
	v_fma_f32 v6, v43, 2.0, -v10
	v_fma_f32 v7, v11, 2.0, -v5
	v_add_f32_e32 v10, v18, v10
	v_sub_f32_e32 v11, v19, v12
	v_fma_f32 v23, v13, 2.0, -v21
	v_fma_f32 v12, v18, 2.0, -v10
	;; [unrolled: 1-line block ×3, first 2 shown]
	v_sub_f32_e32 v19, v44, v14
	v_sub_f32_e32 v18, v45, v15
	v_fma_f32 v14, v44, 2.0, -v19
	v_fma_f32 v15, v45, 2.0, -v18
	v_lshlrev_b32_e32 v24, 2, v34
	v_sub_f32_e32 v6, v16, v6
	v_sub_f32_e32 v14, v17, v14
	;; [unrolled: 1-line block ×3, first 2 shown]
	s_movk_i32 s4, 0x7f0
	v_fma_f32 v8, v16, 2.0, -v6
	v_fma_f32 v16, v17, 2.0, -v14
	v_fma_f32 v17, v23, 2.0, -v15
	v_and_or_b32 v23, v24, s4, v35
	v_lshl_add_u32 v23, v23, 3, 0
	s_movk_i32 s4, 0x9f0
	v_add_f32_e32 v18, v20, v18
	v_sub_f32_e32 v19, v21, v19
	ds_write2_b64 v23, v[7:8], v[12:13] offset1:4
	ds_write2_b64 v23, v[5:6], v[10:11] offset0:8 offset1:12
	v_and_or_b32 v5, v25, s4, v35
	v_fma_f32 v20, v20, 2.0, -v18
	v_fma_f32 v21, v21, 2.0, -v19
	v_lshl_add_u32 v5, v5, 3, 0
	v_and_b32_e32 v23, 15, v0
	ds_write2_b64 v5, v[16:17], v[20:21] offset1:4
	ds_write2_b64 v5, v[14:15], v[18:19] offset0:8 offset1:12
	v_mul_u32_u24_e32 v5, 3, v23
	v_lshlrev_b32_e32 v10, 3, v5
	s_waitcnt lgkmcnt(0)
	s_barrier
	global_load_dwordx4 v[5:8], v10, s[8:9] offset:96
	global_load_dwordx2 v[18:19], v10, s[8:9] offset:112
	ds_read2st64_b64 v[10:13], v9 offset0:20 offset1:22
	ds_read2st64_b64 v[14:17], v9 offset0:12 offset1:14
	s_movk_i32 s4, 0x1c0
	v_and_b32_e32 v0, 63, v0
	v_or_b32_e32 v74, v74, v0
	v_lshl_add_u32 v74, v74, 3, 0
	v_lshrrev_b32_e32 v4, 6, v4
	v_mul_u32_u24_e32 v4, 0x280, v4
	s_waitcnt vmcnt(1) lgkmcnt(1)
	v_mul_f32_e32 v20, v8, v11
	v_fmac_f32_e32 v20, v7, v10
	v_mul_f32_e32 v10, v8, v10
	v_fma_f32 v21, v7, v11, -v10
	v_mul_f32_e32 v10, v8, v12
	v_mul_f32_e32 v26, v8, v13
	v_fma_f32 v27, v7, v13, -v10
	s_waitcnt lgkmcnt(0)
	v_mul_f32_e32 v10, v6, v14
	v_fmac_f32_e32 v26, v7, v12
	v_fma_f32 v30, v5, v15, -v10
	ds_read2st64_b64 v[10:13], v9 offset0:32 offset1:34
	v_mul_f32_e32 v29, v6, v15
	v_fmac_f32_e32 v29, v5, v14
	v_mul_f32_e32 v31, v17, v6
	v_mul_f32_e32 v14, v16, v6
	v_fmac_f32_e32 v31, v16, v5
	v_fma_f32 v32, v17, v5, -v14
	ds_read2st64_b64 v[14:17], v9 offset0:24 offset1:26
	s_waitcnt vmcnt(0) lgkmcnt(1)
	v_mul_f32_e32 v33, v11, v19
	v_fmac_f32_e32 v33, v10, v18
	v_mul_f32_e32 v10, v10, v19
	v_fma_f32 v34, v11, v18, -v10
	v_mul_f32_e32 v10, v12, v19
	v_mul_f32_e32 v35, v13, v19
	v_fma_f32 v36, v13, v18, -v10
	s_waitcnt lgkmcnt(0)
	v_mul_f32_e32 v10, v14, v8
	v_fmac_f32_e32 v35, v12, v18
	v_fma_f32 v38, v15, v7, -v10
	ds_read2st64_b64 v[10:13], v9 offset0:16 offset1:18
	v_mul_f32_e32 v37, v15, v8
	v_fmac_f32_e32 v37, v14, v7
	v_mul_f32_e32 v39, v17, v8
	v_mul_f32_e32 v14, v16, v8
	v_fmac_f32_e32 v39, v16, v7
	v_fma_f32 v40, v17, v7, -v14
	ds_read2st64_b64 v[14:17], v9 offset0:36 offset1:38
	s_waitcnt lgkmcnt(1)
	v_mul_f32_e32 v41, v11, v6
	v_fmac_f32_e32 v41, v10, v5
	v_mul_f32_e32 v10, v10, v6
	v_fma_f32 v42, v11, v5, -v10
	v_mul_f32_e32 v10, v12, v6
	v_mul_f32_e32 v43, v13, v6
	v_fma_f32 v44, v13, v5, -v10
	s_waitcnt lgkmcnt(0)
	v_mul_f32_e32 v10, v14, v19
	v_fmac_f32_e32 v43, v12, v5
	v_fma_f32 v46, v15, v18, -v10
	ds_read2st64_b64 v[10:13], v9 offset0:28 offset1:30
	v_mul_f32_e32 v45, v15, v19
	v_fmac_f32_e32 v45, v14, v18
	v_mul_f32_e32 v14, v16, v19
	v_fma_f32 v48, v17, v18, -v14
	s_waitcnt lgkmcnt(0)
	v_mul_f32_e32 v49, v19, v13
	v_fmac_f32_e32 v49, v18, v12
	v_mul_f32_e32 v12, v19, v12
	v_fma_f32 v50, v18, v13, -v12
	ds_read2st64_b64 v[12:15], v9 offset0:8 offset1:10
	v_mul_f32_e32 v47, v17, v19
	v_fmac_f32_e32 v47, v16, v18
	ds_read2st64_b64 v[16:19], v9 offset1:2
	v_mul_f32_e32 v51, v11, v8
	v_mul_f32_e32 v8, v10, v8
	v_fmac_f32_e32 v51, v10, v7
	v_fma_f32 v53, v11, v7, -v8
	s_waitcnt lgkmcnt(1)
	v_mul_f32_e32 v7, v6, v15
	v_mul_f32_e32 v6, v6, v14
	v_fmac_f32_e32 v7, v5, v14
	v_fma_f32 v5, v5, v15, -v6
	s_waitcnt lgkmcnt(0)
	v_sub_f32_e32 v6, v16, v20
	v_sub_f32_e32 v8, v17, v21
	;; [unrolled: 1-line block ×4, first 2 shown]
	v_fma_f32 v7, v7, 2.0, -v20
	v_fma_f32 v5, v5, 2.0, -v21
	;; [unrolled: 1-line block ×4, first 2 shown]
	v_sub_f32_e32 v10, v14, v7
	v_sub_f32_e32 v11, v15, v5
	v_add_f32_e32 v16, v6, v21
	v_sub_f32_e32 v17, v8, v20
	v_and_or_b32 v49, v52, s4, v23
	v_fma_f32 v14, v14, 2.0, -v10
	v_fma_f32 v15, v15, 2.0, -v11
	;; [unrolled: 1-line block ×4, first 2 shown]
	ds_read2st64_b64 v[5:8], v9 offset0:4 offset1:6
	v_lshl_add_u32 v49, v49, 3, 0
	s_waitcnt lgkmcnt(0)
	s_barrier
	ds_write2_b64 v49, v[14:15], v[20:21] offset1:16
	ds_write2_b64 v49, v[10:11], v[16:17] offset0:32 offset1:48
	v_sub_f32_e32 v20, v18, v26
	v_sub_f32_e32 v21, v19, v27
	;; [unrolled: 1-line block ×4, first 2 shown]
	v_fma_f32 v14, v18, 2.0, -v20
	v_fma_f32 v15, v19, 2.0, -v21
	;; [unrolled: 1-line block ×4, first 2 shown]
	v_add_f32_e32 v16, v20, v16
	s_movk_i32 s4, 0x3c0
	v_sub_f32_e32 v10, v14, v10
	v_sub_f32_e32 v11, v15, v11
	;; [unrolled: 1-line block ×3, first 2 shown]
	v_fma_f32 v18, v20, 2.0, -v16
	v_and_or_b32 v20, v28, s4, v23
	v_fma_f32 v14, v14, 2.0, -v10
	v_fma_f32 v15, v15, 2.0, -v11
	;; [unrolled: 1-line block ×3, first 2 shown]
	v_lshl_add_u32 v20, v20, 3, 0
	ds_write2_b64 v20, v[14:15], v[18:19] offset1:16
	ds_write2_b64 v20, v[10:11], v[16:17] offset0:32 offset1:48
	v_sub_f32_e32 v16, v5, v37
	v_sub_f32_e32 v15, v31, v35
	;; [unrolled: 1-line block ×4, first 2 shown]
	v_fma_f32 v10, v31, 2.0, -v15
	v_fma_f32 v18, v5, 2.0, -v16
	;; [unrolled: 1-line block ×4, first 2 shown]
	v_sub_f32_e32 v5, v18, v10
	s_movk_i32 s4, 0x5c0
	v_sub_f32_e32 v6, v19, v11
	v_fma_f32 v10, v18, 2.0, -v5
	v_add_f32_e32 v14, v16, v14
	v_sub_f32_e32 v15, v17, v15
	v_and_or_b32 v18, v22, s4, v23
	v_fma_f32 v11, v19, 2.0, -v6
	v_fma_f32 v16, v16, 2.0, -v14
	;; [unrolled: 1-line block ×3, first 2 shown]
	v_lshl_add_u32 v18, v18, 3, 0
	ds_write2_b64 v18, v[10:11], v[16:17] offset1:16
	ds_write2_b64 v18, v[5:6], v[14:15] offset0:32 offset1:48
	v_sub_f32_e32 v14, v7, v39
	v_sub_f32_e32 v15, v8, v40
	;; [unrolled: 1-line block ×4, first 2 shown]
	v_fma_f32 v7, v7, 2.0, -v14
	v_fma_f32 v8, v8, 2.0, -v15
	v_fma_f32 v5, v41, 2.0, -v11
	v_fma_f32 v6, v42, 2.0, -v10
	s_movk_i32 s4, 0x7c0
	v_sub_f32_e32 v5, v7, v5
	v_sub_f32_e32 v6, v8, v6
	v_add_f32_e32 v10, v14, v10
	v_sub_f32_e32 v11, v15, v11
	v_sub_f32_e32 v20, v12, v51
	;; [unrolled: 1-line block ×5, first 2 shown]
	v_and_or_b32 v22, v24, s4, v23
	v_fma_f32 v7, v7, 2.0, -v5
	v_fma_f32 v8, v8, 2.0, -v6
	;; [unrolled: 1-line block ×8, first 2 shown]
	v_lshl_add_u32 v22, v22, 3, 0
	s_movk_i32 s4, 0x9c0
	v_sub_f32_e32 v12, v16, v12
	v_sub_f32_e32 v13, v17, v13
	v_add_f32_e32 v18, v20, v18
	v_sub_f32_e32 v19, v21, v19
	ds_write2_b64 v22, v[7:8], v[14:15] offset1:16
	ds_write2_b64 v22, v[5:6], v[10:11] offset0:32 offset1:48
	v_and_or_b32 v5, v25, s4, v23
	v_fma_f32 v16, v16, 2.0, -v12
	v_fma_f32 v17, v17, 2.0, -v13
	;; [unrolled: 1-line block ×4, first 2 shown]
	v_lshl_add_u32 v5, v5, 3, 0
	ds_write2_b64 v5, v[16:17], v[20:21] offset1:16
	ds_write2_b64 v5, v[12:13], v[18:19] offset0:32 offset1:48
	v_mul_u32_u24_e32 v5, 9, v0
	v_lshlrev_b32_e32 v5, 3, v5
	s_waitcnt lgkmcnt(0)
	s_barrier
	global_load_dwordx4 v[12:15], v5, s[8:9] offset:480
	global_load_dwordx4 v[16:19], v5, s[8:9] offset:496
	;; [unrolled: 1-line block ×4, first 2 shown]
	global_load_dwordx2 v[52:53], v5, s[8:9] offset:544
	ds_read2st64_b64 v[5:8], v9 offset0:4 offset1:6
	ds_read2st64_b64 v[31:34], v9 offset0:8 offset1:10
	;; [unrolled: 1-line block ×5, first 2 shown]
	v_or_b32_e32 v0, v4, v0
	v_lshl_add_u32 v0, v0, 3, 0
	s_movk_i32 s4, 0x13e0
	s_waitcnt vmcnt(4) lgkmcnt(4)
	v_mul_f32_e32 v24, v13, v6
	v_fmac_f32_e32 v24, v12, v5
	v_mul_f32_e32 v5, v13, v5
	v_fma_f32 v25, v12, v6, -v5
	s_waitcnt lgkmcnt(3)
	v_mul_f32_e32 v5, v15, v31
	v_fma_f32 v28, v14, v32, -v5
	v_mul_f32_e32 v5, v8, v13
	v_mul_f32_e32 v30, v15, v32
	v_fmac_f32_e32 v5, v7, v12
	v_mul_f32_e32 v6, v7, v13
	v_mul_f32_e32 v13, v34, v15
	;; [unrolled: 1-line block ×3, first 2 shown]
	v_fmac_f32_e32 v30, v14, v31
	v_fmac_f32_e32 v13, v33, v14
	v_fma_f32 v11, v34, v14, -v7
	s_waitcnt vmcnt(3) lgkmcnt(2)
	v_mul_f32_e32 v7, v17, v35
	ds_read2st64_b64 v[31:34], v9 offset0:16 offset1:18
	v_fma_f32 v6, v8, v12, -v6
	v_fma_f32 v26, v16, v36, -v7
	v_mul_f32_e32 v8, v38, v17
	v_mul_f32_e32 v7, v37, v17
	;; [unrolled: 1-line block ×3, first 2 shown]
	v_fmac_f32_e32 v8, v37, v16
	v_fma_f32 v7, v38, v16, -v7
	ds_read2st64_b64 v[36:39], v9 offset0:20 offset1:22
	s_waitcnt lgkmcnt(1)
	v_mul_f32_e32 v10, v19, v31
	v_fmac_f32_e32 v27, v16, v35
	v_mul_f32_e32 v35, v19, v32
	v_fma_f32 v32, v18, v32, -v10
	v_mul_f32_e32 v10, v33, v19
	v_fma_f32 v15, v34, v18, -v10
	s_waitcnt vmcnt(2) lgkmcnt(0)
	v_mul_f32_e32 v10, v36, v21
	v_fma_f32 v29, v37, v20, -v10
	v_mul_f32_e32 v10, v38, v21
	v_mul_f32_e32 v14, v44, v23
	v_fmac_f32_e32 v35, v18, v31
	v_mul_f32_e32 v31, v37, v21
	v_mul_f32_e32 v12, v39, v21
	v_fma_f32 v10, v39, v20, -v10
	v_mul_f32_e32 v39, v45, v23
	v_fma_f32 v37, v45, v22, -v14
	v_mul_f32_e32 v21, v47, v23
	v_mul_f32_e32 v14, v46, v23
	;; [unrolled: 1-line block ×3, first 2 shown]
	v_fmac_f32_e32 v39, v44, v22
	v_fmac_f32_e32 v21, v46, v22
	v_fma_f32 v19, v47, v22, -v14
	s_waitcnt vmcnt(1)
	v_mul_f32_e32 v14, v48, v41
	ds_read2st64_b64 v[44:47], v9 offset0:32 offset1:34
	v_fmac_f32_e32 v17, v33, v18
	v_fmac_f32_e32 v31, v36, v20
	v_mul_f32_e32 v36, v49, v41
	v_fma_f32 v33, v49, v40, -v14
	v_mul_f32_e32 v16, v51, v41
	v_mul_f32_e32 v14, v50, v41
	v_fmac_f32_e32 v36, v48, v40
	v_fmac_f32_e32 v16, v50, v40
	v_fma_f32 v14, v51, v40, -v14
	ds_read2st64_b64 v[48:51], v9 offset0:36 offset1:38
	s_waitcnt lgkmcnt(1)
	v_mul_f32_e32 v54, v45, v43
	v_fmac_f32_e32 v54, v44, v42
	v_mul_f32_e32 v18, v44, v43
	v_fma_f32 v55, v45, v42, -v18
	v_mul_f32_e32 v23, v47, v43
	v_mul_f32_e32 v18, v46, v43
	s_waitcnt vmcnt(0) lgkmcnt(0)
	v_mul_f32_e32 v40, v49, v53
	v_sub_f32_e32 v34, v30, v35
	v_sub_f32_e32 v41, v54, v39
	v_fmac_f32_e32 v23, v46, v42
	v_fma_f32 v22, v47, v42, -v18
	v_fmac_f32_e32 v40, v48, v52
	v_mul_f32_e32 v18, v48, v53
	v_add_f32_e32 v34, v34, v41
	v_sub_f32_e32 v41, v28, v32
	v_sub_f32_e32 v42, v55, v37
	v_fmac_f32_e32 v12, v38, v20
	v_fma_f32 v38, v49, v52, -v18
	v_mul_f32_e32 v20, v51, v53
	v_add_f32_e32 v49, v41, v42
	v_sub_f32_e32 v41, v27, v31
	v_sub_f32_e32 v42, v40, v36
	v_fmac_f32_e32 v20, v50, v52
	v_mul_f32_e32 v18, v50, v53
	v_add_f32_e32 v50, v41, v42
	v_sub_f32_e32 v41, v26, v29
	v_sub_f32_e32 v42, v38, v33
	v_fma_f32 v18, v51, v52, -v18
	v_add_f32_e32 v51, v41, v42
	v_add_f32_e32 v41, v31, v36
	v_fma_f32 v52, -0.5, v41, v24
	v_add_f32_e32 v41, v29, v33
	v_fma_f32 v57, -0.5, v41, v25
	v_sub_f32_e32 v58, v27, v40
	v_mov_b32_e32 v46, v57
	ds_read2st64_b64 v[41:44], v9 offset1:2
	v_sub_f32_e32 v53, v26, v38
	v_mov_b32_e32 v45, v52
	v_fmac_f32_e32 v46, 0x3f737871, v58
	v_sub_f32_e32 v59, v31, v36
	v_fmac_f32_e32 v45, 0xbf737871, v53
	v_sub_f32_e32 v56, v29, v33
	v_fmac_f32_e32 v46, 0x3f167918, v59
	v_fmac_f32_e32 v45, 0xbf167918, v56
	;; [unrolled: 1-line block ×4, first 2 shown]
	v_mul_f32_e32 v60, 0xbf167918, v46
	v_mul_f32_e32 v61, 0x3f4f1bbd, v46
	v_fmac_f32_e32 v60, 0x3f4f1bbd, v45
	v_fmac_f32_e32 v61, 0x3f167918, v45
	s_waitcnt lgkmcnt(0)
	v_add_f32_e32 v45, v41, v30
	v_add_f32_e32 v45, v45, v35
	;; [unrolled: 1-line block ×5, first 2 shown]
	v_sub_f32_e32 v69, v30, v54
	v_sub_f32_e32 v71, v35, v39
	;; [unrolled: 1-line block ×3, first 2 shown]
	v_add_f32_e32 v30, v30, v54
	v_fma_f32 v63, -0.5, v45, v41
	v_add_f32_e32 v45, v42, v28
	v_sub_f32_e32 v39, v39, v54
	v_fma_f32 v30, -0.5, v30, v41
	v_sub_f32_e32 v66, v32, v37
	v_add_f32_e32 v45, v45, v32
	v_add_f32_e32 v35, v35, v39
	v_mov_b32_e32 v39, v30
	v_sub_f32_e32 v64, v28, v55
	v_add_f32_e32 v45, v45, v37
	v_fmac_f32_e32 v39, 0x3f737871, v66
	v_fmac_f32_e32 v30, 0xbf737871, v66
	v_add_f32_e32 v67, v45, v55
	v_add_f32_e32 v45, v32, v37
	v_fmac_f32_e32 v39, 0xbf167918, v64
	v_fmac_f32_e32 v30, 0x3f167918, v64
	v_sub_f32_e32 v32, v32, v28
	v_add_f32_e32 v28, v28, v55
	v_fmac_f32_e32 v39, 0x3e9e377a, v35
	v_fmac_f32_e32 v30, 0x3e9e377a, v35
	v_sub_f32_e32 v35, v37, v55
	v_fma_f32 v28, -0.5, v28, v42
	v_add_f32_e32 v32, v32, v35
	v_mov_b32_e32 v35, v28
	v_fmac_f32_e32 v35, 0xbf737871, v71
	v_fmac_f32_e32 v28, 0x3f737871, v71
	;; [unrolled: 1-line block ×4, first 2 shown]
	v_fma_f32 v68, -0.5, v45, v42
	v_add_f32_e32 v45, v24, v27
	v_fmac_f32_e32 v35, 0x3e9e377a, v32
	v_fmac_f32_e32 v28, 0x3e9e377a, v32
	v_add_f32_e32 v32, v27, v40
	v_add_f32_e32 v45, v45, v31
	v_fmac_f32_e32 v24, -0.5, v32
	v_sub_f32_e32 v27, v31, v27
	v_sub_f32_e32 v31, v36, v40
	v_add_f32_e32 v27, v27, v31
	v_mov_b32_e32 v31, v24
	v_fmac_f32_e32 v31, 0x3f737871, v56
	v_fmac_f32_e32 v24, 0xbf737871, v56
	;; [unrolled: 1-line block ×4, first 2 shown]
	v_add_f32_e32 v45, v45, v36
	v_fmac_f32_e32 v31, 0x3e9e377a, v27
	v_fmac_f32_e32 v24, 0x3e9e377a, v27
	v_add_f32_e32 v27, v26, v38
	v_add_f32_e32 v72, v45, v40
	;; [unrolled: 1-line block ×3, first 2 shown]
	v_fmac_f32_e32 v25, -0.5, v27
	v_sub_f32_e32 v26, v29, v26
	v_sub_f32_e32 v27, v33, v38
	v_add_f32_e32 v26, v26, v27
	v_mov_b32_e32 v27, v25
	v_fmac_f32_e32 v27, 0xbf737871, v59
	v_fmac_f32_e32 v27, 0x3f167918, v58
	;; [unrolled: 1-line block ×3, first 2 shown]
	v_mov_b32_e32 v65, v63
	v_fmac_f32_e32 v27, 0x3e9e377a, v26
	v_fmac_f32_e32 v25, 0xbf167918, v58
	;; [unrolled: 1-line block ×4, first 2 shown]
	v_add_f32_e32 v45, v45, v29
	v_fmac_f32_e32 v25, 0x3e9e377a, v26
	v_mul_f32_e32 v29, 0xbf737871, v27
	v_mul_f32_e32 v32, 0x3e9e377a, v27
	v_fmac_f32_e32 v63, 0x3f737871, v64
	v_fmac_f32_e32 v52, 0x3f737871, v53
	;; [unrolled: 1-line block ×4, first 2 shown]
	v_mov_b32_e32 v70, v68
	v_add_f32_e32 v45, v45, v33
	v_fmac_f32_e32 v29, 0x3e9e377a, v31
	v_fmac_f32_e32 v32, 0x3f737871, v31
	v_mul_f32_e32 v31, 0xbf737871, v25
	v_mul_f32_e32 v33, 0xbe9e377a, v25
	v_fmac_f32_e32 v63, 0x3f167918, v66
	v_fmac_f32_e32 v68, 0xbf737871, v69
	;; [unrolled: 1-line block ×11, first 2 shown]
	v_mul_f32_e32 v34, 0xbf167918, v57
	v_mul_f32_e32 v36, 0xbf4f1bbd, v57
	v_fmac_f32_e32 v70, 0x3f167918, v71
	v_add_f32_e32 v73, v45, v38
	v_add_f32_e32 v24, v39, v29
	;; [unrolled: 1-line block ×5, first 2 shown]
	v_fmac_f32_e32 v68, 0x3e9e377a, v49
	v_fmac_f32_e32 v34, 0xbf4f1bbd, v52
	;; [unrolled: 1-line block ×4, first 2 shown]
	s_barrier
	ds_write2st64_b64 v74, v[24:25], v[26:27] offset0:2 offset1:3
	v_sub_f32_e32 v24, v62, v72
	v_sub_f32_e32 v25, v67, v73
	v_add_f32_e32 v26, v63, v34
	v_add_f32_e32 v27, v68, v36
	ds_write2st64_b64 v74, v[26:27], v[24:25] offset0:4 offset1:5
	v_sub_f32_e32 v24, v65, v60
	v_sub_f32_e32 v25, v70, v61
	;; [unrolled: 1-line block ×4, first 2 shown]
	ds_write2st64_b64 v74, v[24:25], v[26:27] offset0:6 offset1:7
	v_sub_f32_e32 v24, v30, v31
	v_sub_f32_e32 v25, v28, v33
	;; [unrolled: 1-line block ×4, first 2 shown]
	ds_write2st64_b64 v74, v[24:25], v[26:27] offset0:8 offset1:9
	v_add_f32_e32 v24, v15, v19
	v_fma_f32 v27, -0.5, v24, v44
	v_add_f32_e32 v24, v11, v22
	v_add_f32_e32 v25, v44, v11
	v_fmac_f32_e32 v44, -0.5, v24
	v_sub_f32_e32 v24, v15, v11
	v_sub_f32_e32 v26, v19, v22
	v_add_f32_e32 v28, v24, v26
	v_add_f32_e32 v24, v12, v16
	v_fma_f32 v29, -0.5, v24, v5
	v_add_f32_e32 v24, v8, v20
	v_add_f32_e32 v30, v5, v8
	v_fmac_f32_e32 v5, -0.5, v24
	v_sub_f32_e32 v24, v12, v8
	v_sub_f32_e32 v26, v16, v20
	v_add_f32_e32 v31, v24, v26
	v_add_f32_e32 v24, v10, v14
	;; [unrolled: 1-line block ×6, first 2 shown]
	v_fma_f32 v32, -0.5, v24, v6
	v_add_f32_e32 v24, v7, v18
	ds_write2st64_b64 v74, v[45:46], v[47:48] offset1:1
	v_add_f32_e32 v33, v6, v7
	v_fmac_f32_e32 v6, -0.5, v24
	v_sub_f32_e32 v45, v12, v16
	v_sub_f32_e32 v24, v10, v7
	;; [unrolled: 1-line block ×4, first 2 shown]
	v_mov_b32_e32 v46, v6
	v_fmac_f32_e32 v6, 0x3f737871, v45
	v_sub_f32_e32 v47, v8, v20
	v_add_f32_e32 v34, v24, v26
	v_add_f32_e32 v24, v17, v21
	v_sub_f32_e32 v37, v17, v21
	v_mov_b32_e32 v41, v5
	v_fmac_f32_e32 v5, 0xbf737871, v40
	v_sub_f32_e32 v42, v7, v18
	v_fmac_f32_e32 v6, 0xbf167918, v47
	v_fma_f32 v35, -0.5, v24, v43
	v_add_f32_e32 v24, v13, v23
	v_mov_b32_e32 v38, v44
	v_fmac_f32_e32 v44, 0x3f737871, v37
	v_sub_f32_e32 v39, v13, v23
	v_fmac_f32_e32 v5, 0x3f167918, v42
	v_fmac_f32_e32 v6, 0x3e9e377a, v34
	v_fma_f32 v36, -0.5, v24, v43
	v_fmac_f32_e32 v44, 0xbf167918, v39
	v_fmac_f32_e32 v5, 0x3e9e377a, v31
	v_mul_f32_e32 v26, 0xbe9e377a, v6
	v_add_f32_e32 v43, v43, v13
	v_fmac_f32_e32 v44, 0x3e9e377a, v28
	v_fmac_f32_e32 v26, 0x3f737871, v5
	v_add_f32_e32 v43, v43, v17
	v_add_f32_e32 v24, v44, v26
	v_sub_f32_e32 v26, v44, v26
	v_sub_f32_e32 v44, v13, v17
	v_sub_f32_e32 v48, v23, v21
	v_sub_f32_e32 v13, v17, v13
	v_add_f32_e32 v17, v43, v21
	v_sub_f32_e32 v21, v21, v23
	v_sub_f32_e32 v50, v15, v19
	v_add_f32_e32 v13, v13, v21
	v_mov_b32_e32 v21, v36
	v_add_f32_e32 v44, v44, v48
	v_sub_f32_e32 v48, v11, v22
	v_fmac_f32_e32 v21, 0x3f737871, v50
	v_fmac_f32_e32 v36, 0xbf737871, v50
	;; [unrolled: 1-line block ×6, first 2 shown]
	v_add_f32_e32 v13, v25, v15
	v_sub_f32_e32 v11, v11, v15
	v_sub_f32_e32 v15, v22, v19
	v_add_f32_e32 v11, v11, v15
	v_mov_b32_e32 v15, v27
	v_fmac_f32_e32 v15, 0x3f737871, v39
	v_fmac_f32_e32 v27, 0xbf737871, v39
	v_fmac_f32_e32 v15, 0x3f167918, v37
	v_fmac_f32_e32 v27, 0xbf167918, v37
	v_fmac_f32_e32 v15, 0x3e9e377a, v11
	v_fmac_f32_e32 v27, 0x3e9e377a, v11
	v_add_f32_e32 v11, v30, v12
	v_sub_f32_e32 v8, v8, v12
	v_sub_f32_e32 v12, v20, v16
	v_add_f32_e32 v8, v8, v12
	v_mov_b32_e32 v12, v29
	v_fmac_f32_e32 v12, 0xbf737871, v42
	v_fmac_f32_e32 v29, 0x3f737871, v42
	v_fmac_f32_e32 v12, 0xbf167918, v40
	v_fmac_f32_e32 v29, 0x3f167918, v40
	v_fmac_f32_e32 v12, 0x3e9e377a, v8
	v_fmac_f32_e32 v29, 0x3e9e377a, v8
	v_add_f32_e32 v8, v33, v10
	v_sub_f32_e32 v7, v7, v10
	v_add_f32_e32 v8, v8, v14
	v_sub_f32_e32 v10, v18, v14
	v_mov_b32_e32 v14, v32
	v_fmac_f32_e32 v14, 0x3f737871, v47
	v_fmac_f32_e32 v46, 0xbf737871, v45
	v_mov_b32_e32 v49, v35
	v_add_f32_e32 v11, v11, v16
	v_fmac_f32_e32 v41, 0x3f737871, v40
	v_add_f32_e32 v7, v7, v10
	v_fmac_f32_e32 v14, 0x3f167918, v45
	v_fmac_f32_e32 v32, 0xbf737871, v47
	;; [unrolled: 1-line block ×4, first 2 shown]
	v_add_f32_e32 v17, v17, v23
	v_add_f32_e32 v13, v13, v19
	;; [unrolled: 1-line block ×3, first 2 shown]
	v_fmac_f32_e32 v41, 0xbf167918, v42
	v_fmac_f32_e32 v14, 0x3e9e377a, v7
	;; [unrolled: 1-line block ×4, first 2 shown]
	v_mul_f32_e32 v6, 0xbf737871, v6
	v_fmac_f32_e32 v49, 0xbf167918, v50
	v_add_f32_e32 v13, v13, v22
	v_fmac_f32_e32 v41, 0x3e9e377a, v31
	v_add_f32_e32 v8, v8, v18
	v_fmac_f32_e32 v32, 0x3e9e377a, v7
	v_fmac_f32_e32 v6, 0xbe9e377a, v5
	v_add_f32_e32 v5, v17, v11
	v_mul_f32_e32 v16, 0xbf167918, v14
	v_sub_f32_e32 v7, v17, v11
	v_mul_f32_e32 v17, 0xbf737871, v46
	v_fmac_f32_e32 v49, 0x3e9e377a, v44
	v_fmac_f32_e32 v35, 0x3f737871, v48
	;; [unrolled: 1-line block ×3, first 2 shown]
	v_add_f32_e32 v23, v36, v6
	v_sub_f32_e32 v25, v36, v6
	v_fmac_f32_e32 v16, 0x3f4f1bbd, v12
	v_add_f32_e32 v6, v13, v8
	v_sub_f32_e32 v8, v13, v8
	v_mul_f32_e32 v13, 0x3f4f1bbd, v14
	v_fmac_f32_e32 v17, 0x3e9e377a, v41
	v_fmac_f32_e32 v35, 0x3f167918, v50
	;; [unrolled: 1-line block ×3, first 2 shown]
	v_add_f32_e32 v10, v49, v16
	v_fmac_f32_e32 v13, 0x3f167918, v12
	v_sub_f32_e32 v12, v49, v16
	v_add_f32_e32 v14, v21, v17
	v_mul_f32_e32 v18, 0x3e9e377a, v46
	v_mul_f32_e32 v20, 0xbf167918, v32
	v_sub_f32_e32 v16, v21, v17
	v_mul_f32_e32 v21, 0xbf4f1bbd, v32
	v_fmac_f32_e32 v35, 0x3e9e377a, v44
	v_fmac_f32_e32 v38, 0x3e9e377a, v28
	v_add_f32_e32 v11, v15, v13
	v_fmac_f32_e32 v18, 0x3f737871, v41
	v_fmac_f32_e32 v20, 0xbf4f1bbd, v29
	;; [unrolled: 1-line block ×3, first 2 shown]
	v_sub_f32_e32 v13, v15, v13
	v_add_f32_e32 v15, v38, v18
	v_sub_f32_e32 v17, v38, v18
	v_add_f32_e32 v18, v35, v20
	v_add_f32_e32 v19, v27, v21
	v_sub_f32_e32 v20, v35, v20
	v_sub_f32_e32 v21, v27, v21
	ds_write2st64_b64 v0, v[5:6], v[10:11] offset1:1
	ds_write2st64_b64 v0, v[14:15], v[23:24] offset0:2 offset1:3
	ds_write2st64_b64 v0, v[18:19], v[7:8] offset0:4 offset1:5
	ds_write2st64_b64 v0, v[12:13], v[16:17] offset0:6 offset1:7
	ds_write2st64_b64 v0, v[25:26], v[20:21] offset0:8 offset1:9
	v_mul_u32_u24_e32 v0, 3, v3
	v_lshlrev_b32_e32 v0, 3, v0
	v_mov_b32_e32 v6, s9
	v_add_co_u32_e32 v8, vcc, s8, v0
	v_addc_co_u32_e32 v18, vcc, 0, v6, vcc
	v_add_co_u32_e32 v4, vcc, s5, v8
	v_addc_co_u32_e32 v5, vcc, 0, v18, vcc
	s_movk_i32 s5, 0x2be0
	s_waitcnt lgkmcnt(0)
	s_barrier
	global_load_dwordx2 v[30:31], v[4:5], off offset:16
	v_add_co_u32_e32 v4, vcc, s5, v8
	v_addc_co_u32_e32 v5, vcc, 0, v18, vcc
	global_load_dwordx2 v[34:35], v[4:5], off offset:16
	v_add_co_u32_e32 v4, vcc, s4, v8
	v_addc_co_u32_e32 v5, vcc, 0, v18, vcc
	v_or_b32_e32 v0, 0x3000, v0
	v_add_co_u32_e32 v0, vcc, s8, v0
	s_movk_i32 s5, 0x1000
	v_addc_co_u32_e32 v12, vcc, 0, v6, vcc
	global_load_dwordx2 v[36:37], v[4:5], off offset:16
	v_add_co_u32_e32 v4, vcc, s5, v0
	v_addc_co_u32_e32 v5, vcc, 0, v12, vcc
	global_load_dwordx4 v[4:7], v[4:5], off offset:992
	v_add_co_u32_e32 v10, vcc, s6, v8
	v_addc_co_u32_e32 v11, vcc, 0, v18, vcc
	global_load_dwordx2 v[38:39], v[10:11], off offset:16
	v_add_co_u32_e32 v10, vcc, s4, v0
	v_addc_co_u32_e32 v11, vcc, 0, v12, vcc
	global_load_dwordx2 v[40:41], v[10:11], off offset:16
	s_movk_i32 s4, 0x3000
	v_add_co_u32_e32 v10, vcc, s4, v8
	v_addc_co_u32_e32 v11, vcc, 0, v18, vcc
	global_load_dwordx4 v[10:13], v[10:11], off offset:2016
	s_movk_i32 s4, 0x2000
	v_add_co_u32_e32 v14, vcc, s4, v8
	v_addc_co_u32_e32 v15, vcc, 0, v18, vcc
	global_load_dwordx4 v[14:17], v[14:15], off offset:3040
	v_add_co_u32_e32 v26, vcc, s5, v8
	v_addc_co_u32_e32 v27, vcc, 0, v18, vcc
	global_load_dwordx4 v[18:21], v[26:27], off offset:4064
	global_load_dwordx4 v[22:25], v[26:27], off offset:992
	ds_read2st64_b64 v[26:29], v9 offset0:32 offset1:34
	s_waitcnt vmcnt(9) lgkmcnt(0)
	v_mul_f32_e32 v0, v27, v31
	v_mul_f32_e32 v8, v26, v31
	v_fmac_f32_e32 v0, v26, v30
	v_fma_f32 v8, v27, v30, -v8
	ds_read2st64_b64 v[30:33], v9 offset0:28 offset1:30
	s_waitcnt vmcnt(8)
	v_mul_f32_e32 v42, v29, v35
	v_mul_f32_e32 v26, v28, v35
	v_fmac_f32_e32 v42, v28, v34
	v_fma_f32 v34, v29, v34, -v26
	s_waitcnt vmcnt(7) lgkmcnt(0)
	v_mul_f32_e32 v35, v37, v33
	v_mul_f32_e32 v26, v37, v32
	v_fmac_f32_e32 v35, v36, v32
	v_fma_f32 v36, v36, v33, -v26
	ds_read2st64_b64 v[26:29], v9 offset0:36 offset1:38
	s_waitcnt vmcnt(6)
	v_mul_f32_e32 v37, v31, v7
	v_mul_f32_e32 v7, v30, v7
	v_fmac_f32_e32 v37, v30, v6
	v_fma_f32 v43, v31, v6, -v7
	ds_read2st64_b64 v[30:33], v9 offset0:16 offset1:18
	s_waitcnt vmcnt(5) lgkmcnt(1)
	v_mul_f32_e32 v44, v27, v39
	v_mul_f32_e32 v6, v26, v39
	v_fmac_f32_e32 v44, v26, v38
	v_fma_f32 v26, v27, v38, -v6
	s_waitcnt vmcnt(4)
	v_mul_f32_e32 v27, v29, v41
	v_mul_f32_e32 v6, v28, v41
	v_fmac_f32_e32 v27, v28, v40
	v_fma_f32 v28, v29, v40, -v6
	s_waitcnt lgkmcnt(0)
	v_mul_f32_e32 v29, v33, v5
	v_mul_f32_e32 v5, v32, v5
	v_fmac_f32_e32 v29, v32, v4
	v_fma_f32 v32, v33, v4, -v5
	ds_read2st64_b64 v[4:7], v9 offset0:24 offset1:26
	s_waitcnt vmcnt(3)
	v_mul_f32_e32 v33, v31, v11
	v_mul_f32_e32 v11, v30, v11
	v_fmac_f32_e32 v33, v30, v10
	v_fma_f32 v30, v31, v10, -v11
	s_waitcnt lgkmcnt(0)
	v_mul_f32_e32 v31, v7, v13
	v_fmac_f32_e32 v31, v6, v12
	v_mul_f32_e32 v6, v6, v13
	v_fma_f32 v38, v7, v12, -v6
	ds_read2st64_b64 v[10:13], v9 offset0:12 offset1:14
	s_waitcnt vmcnt(2)
	v_mul_f32_e32 v39, v5, v17
	v_fmac_f32_e32 v39, v4, v16
	v_mul_f32_e32 v4, v4, v17
	v_fma_f32 v40, v5, v16, -v4
	s_waitcnt lgkmcnt(0)
	v_mul_f32_e32 v4, v12, v15
	v_fma_f32 v45, v13, v14, -v4
	ds_read2st64_b64 v[4:7], v9 offset0:20 offset1:22
	s_waitcnt vmcnt(1)
	v_mul_f32_e32 v16, v19, v11
	v_mul_f32_e32 v41, v13, v15
	v_fmac_f32_e32 v16, v18, v10
	v_mul_f32_e32 v10, v19, v10
	v_fmac_f32_e32 v41, v12, v14
	v_fma_f32 v17, v18, v11, -v10
	ds_read2st64_b64 v[10:13], v9 offset0:8 offset1:10
	s_waitcnt lgkmcnt(1)
	v_mul_f32_e32 v14, v7, v21
	s_waitcnt vmcnt(0)
	v_mul_f32_e32 v18, v25, v5
	v_fmac_f32_e32 v14, v6, v20
	v_mul_f32_e32 v6, v6, v21
	v_fmac_f32_e32 v18, v24, v4
	v_mul_f32_e32 v4, v25, v4
	v_fma_f32 v15, v7, v20, -v6
	v_fma_f32 v19, v24, v5, -v4
	ds_read2st64_b64 v[4:7], v9 offset1:2
	s_waitcnt lgkmcnt(1)
	v_mul_f32_e32 v20, v23, v13
	v_fmac_f32_e32 v20, v22, v12
	v_mul_f32_e32 v12, v23, v12
	v_fma_f32 v12, v22, v13, -v12
	s_waitcnt lgkmcnt(0)
	v_sub_f32_e32 v21, v4, v18
	v_sub_f32_e32 v22, v5, v19
	;; [unrolled: 1-line block ×5, first 2 shown]
	v_fma_f32 v4, v4, 2.0, -v21
	v_fma_f32 v5, v5, 2.0, -v22
	;; [unrolled: 1-line block ×4, first 2 shown]
	v_sub_f32_e32 v24, v7, v15
	v_sub_f32_e32 v12, v4, v13
	;; [unrolled: 1-line block ×5, first 2 shown]
	v_fma_f32 v6, v6, 2.0, -v23
	v_fma_f32 v7, v7, 2.0, -v24
	;; [unrolled: 1-line block ×6, first 2 shown]
	v_sub_f32_e32 v16, v6, v4
	v_sub_f32_e32 v17, v7, v5
	v_fma_f32 v18, v6, 2.0, -v16
	v_fma_f32 v19, v7, 2.0, -v17
	ds_read2st64_b64 v[4:7], v9 offset0:4 offset1:6
	s_waitcnt lgkmcnt(0)
	s_barrier
	ds_write2st64_b64 v9, v[14:15], v[18:19] offset1:2
	ds_write2st64_b64 v9, v[12:13], v[16:17] offset0:20 offset1:22
	v_add_f32_e32 v12, v23, v8
	v_sub_f32_e32 v13, v24, v0
	v_fma_f32 v14, v23, 2.0, -v12
	v_sub_f32_e32 v0, v4, v39
	v_sub_f32_e32 v8, v5, v40
	;; [unrolled: 1-line block ×4, first 2 shown]
	v_add_f32_e32 v16, v0, v23
	v_sub_f32_e32 v17, v8, v20
	v_sub_f32_e32 v34, v10, v37
	;; [unrolled: 1-line block ×3, first 2 shown]
	v_fma_f32 v15, v24, 2.0, -v13
	v_fma_f32 v18, v0, 2.0, -v16
	;; [unrolled: 1-line block ×5, first 2 shown]
	v_sub_f32_e32 v24, v6, v31
	v_sub_f32_e32 v31, v7, v38
	v_fma_f32 v37, v10, 2.0, -v34
	v_fma_f32 v38, v11, 2.0, -v36
	;; [unrolled: 1-line block ×4, first 2 shown]
	v_sub_f32_e32 v10, v0, v10
	v_sub_f32_e32 v11, v8, v11
	ds_write2st64_b64 v9, v[14:15], v[18:19] offset0:12 offset1:14
	ds_write2st64_b64 v9, v[12:13], v[16:17] offset0:32 offset1:34
	v_fma_f32 v12, v0, 2.0, -v10
	v_fma_f32 v13, v8, 2.0, -v11
	v_sub_f32_e32 v0, v33, v44
	v_sub_f32_e32 v8, v30, v26
	v_fma_f32 v16, v6, 2.0, -v24
	v_fma_f32 v17, v7, 2.0, -v31
	v_sub_f32_e32 v5, v22, v25
	v_fma_f32 v14, v33, 2.0, -v0
	v_fma_f32 v15, v30, 2.0, -v8
	v_add_f32_e32 v18, v24, v8
	v_sub_f32_e32 v19, v31, v0
	v_sub_f32_e32 v0, v29, v27
	;; [unrolled: 1-line block ×3, first 2 shown]
	v_fma_f32 v7, v22, 2.0, -v5
	v_sub_f32_e32 v14, v16, v14
	v_sub_f32_e32 v15, v17, v15
	v_fma_f32 v22, v29, 2.0, -v0
	v_fma_f32 v23, v32, 2.0, -v8
	v_add_f32_e32 v4, v21, v35
	v_fma_f32 v16, v16, 2.0, -v14
	v_fma_f32 v17, v17, 2.0, -v15
	v_sub_f32_e32 v22, v37, v22
	v_sub_f32_e32 v23, v38, v23
	v_add_f32_e32 v26, v34, v8
	v_sub_f32_e32 v27, v36, v0
	v_fma_f32 v6, v21, 2.0, -v4
	v_fma_f32 v20, v24, 2.0, -v18
	;; [unrolled: 1-line block ×7, first 2 shown]
	ds_write2st64_b64 v9, v[12:13], v[16:17] offset0:4 offset1:6
	ds_write2st64_b64 v9, v[10:11], v[14:15] offset0:24 offset1:26
	ds_write2st64_b64 v9, v[24:25], v[6:7] offset0:8 offset1:10
	ds_write2st64_b64 v9, v[20:21], v[28:29] offset0:16 offset1:18
	ds_write2st64_b64 v9, v[22:23], v[4:5] offset0:28 offset1:30
	ds_write2st64_b64 v9, v[18:19], v[26:27] offset0:36 offset1:38
	s_waitcnt lgkmcnt(0)
	s_barrier
	s_and_saveexec_b64 s[4:5], s[0:1]
	s_cbranch_execz .LBB0_19
; %bb.18:
	v_lshl_add_u32 v9, v3, 3, 0
	v_mov_b32_e32 v4, 0
	ds_read2st64_b64 v[5:8], v9 offset1:2
	v_mov_b32_e32 v0, s3
	v_add_co_u32_e32 v10, vcc, s2, v1
	v_addc_co_u32_e32 v2, vcc, v0, v2, vcc
	v_lshlrev_b64 v[0:1], 3, v[3:4]
	v_add_co_u32_e32 v0, vcc, v10, v0
	v_addc_co_u32_e32 v1, vcc, v2, v1, vcc
	s_waitcnt lgkmcnt(0)
	global_store_dwordx2 v[0:1], v[5:6], off
	v_add_u32_e32 v0, 0x80, v3
	v_mov_b32_e32 v1, v4
	v_lshlrev_b64 v[0:1], 3, v[0:1]
	v_add_co_u32_e32 v0, vcc, v10, v0
	v_addc_co_u32_e32 v1, vcc, v2, v1, vcc
	global_store_dwordx2 v[0:1], v[7:8], off
	v_add_u32_e32 v0, 0x100, v3
	v_mov_b32_e32 v1, v4
	ds_read2st64_b64 v[5:8], v9 offset0:4 offset1:6
	v_lshlrev_b64 v[0:1], 3, v[0:1]
	v_add_co_u32_e32 v0, vcc, v10, v0
	v_addc_co_u32_e32 v1, vcc, v2, v1, vcc
	s_waitcnt lgkmcnt(0)
	global_store_dwordx2 v[0:1], v[5:6], off
	v_add_u32_e32 v0, 0x180, v3
	v_mov_b32_e32 v1, v4
	v_lshlrev_b64 v[0:1], 3, v[0:1]
	v_add_co_u32_e32 v0, vcc, v10, v0
	v_addc_co_u32_e32 v1, vcc, v2, v1, vcc
	global_store_dwordx2 v[0:1], v[7:8], off
	v_add_u32_e32 v0, 0x200, v3
	v_mov_b32_e32 v1, v4
	ds_read2st64_b64 v[5:8], v9 offset0:8 offset1:10
	;; [unrolled: 14-line block ×9, first 2 shown]
	v_lshlrev_b64 v[0:1], 3, v[0:1]
	v_add_u32_e32 v3, 0x980, v3
	v_add_co_u32_e32 v0, vcc, v10, v0
	v_addc_co_u32_e32 v1, vcc, v2, v1, vcc
	s_waitcnt lgkmcnt(0)
	global_store_dwordx2 v[0:1], v[5:6], off
	v_lshlrev_b64 v[0:1], 3, v[3:4]
	v_add_co_u32_e32 v0, vcc, v10, v0
	v_addc_co_u32_e32 v1, vcc, v2, v1, vcc
	global_store_dwordx2 v[0:1], v[7:8], off
.LBB0_19:
	s_endpgm
	.section	.rodata,"a",@progbits
	.p2align	6, 0x0
	.amdhsa_kernel fft_rtc_back_len2560_factors_4_4_4_10_4_wgs_128_tpt_128_halfLds_sp_ip_CI_unitstride_sbrr_C2R_dirReg
		.amdhsa_group_segment_fixed_size 0
		.amdhsa_private_segment_fixed_size 0
		.amdhsa_kernarg_size 88
		.amdhsa_user_sgpr_count 6
		.amdhsa_user_sgpr_private_segment_buffer 1
		.amdhsa_user_sgpr_dispatch_ptr 0
		.amdhsa_user_sgpr_queue_ptr 0
		.amdhsa_user_sgpr_kernarg_segment_ptr 1
		.amdhsa_user_sgpr_dispatch_id 0
		.amdhsa_user_sgpr_flat_scratch_init 0
		.amdhsa_user_sgpr_private_segment_size 0
		.amdhsa_uses_dynamic_stack 0
		.amdhsa_system_sgpr_private_segment_wavefront_offset 0
		.amdhsa_system_sgpr_workgroup_id_x 1
		.amdhsa_system_sgpr_workgroup_id_y 0
		.amdhsa_system_sgpr_workgroup_id_z 0
		.amdhsa_system_sgpr_workgroup_info 0
		.amdhsa_system_vgpr_workitem_id 0
		.amdhsa_next_free_vgpr 75
		.amdhsa_next_free_sgpr 22
		.amdhsa_reserve_vcc 1
		.amdhsa_reserve_flat_scratch 0
		.amdhsa_float_round_mode_32 0
		.amdhsa_float_round_mode_16_64 0
		.amdhsa_float_denorm_mode_32 3
		.amdhsa_float_denorm_mode_16_64 3
		.amdhsa_dx10_clamp 1
		.amdhsa_ieee_mode 1
		.amdhsa_fp16_overflow 0
		.amdhsa_exception_fp_ieee_invalid_op 0
		.amdhsa_exception_fp_denorm_src 0
		.amdhsa_exception_fp_ieee_div_zero 0
		.amdhsa_exception_fp_ieee_overflow 0
		.amdhsa_exception_fp_ieee_underflow 0
		.amdhsa_exception_fp_ieee_inexact 0
		.amdhsa_exception_int_div_zero 0
	.end_amdhsa_kernel
	.text
.Lfunc_end0:
	.size	fft_rtc_back_len2560_factors_4_4_4_10_4_wgs_128_tpt_128_halfLds_sp_ip_CI_unitstride_sbrr_C2R_dirReg, .Lfunc_end0-fft_rtc_back_len2560_factors_4_4_4_10_4_wgs_128_tpt_128_halfLds_sp_ip_CI_unitstride_sbrr_C2R_dirReg
                                        ; -- End function
	.section	.AMDGPU.csdata,"",@progbits
; Kernel info:
; codeLenInByte = 10708
; NumSgprs: 26
; NumVgprs: 75
; ScratchSize: 0
; MemoryBound: 0
; FloatMode: 240
; IeeeMode: 1
; LDSByteSize: 0 bytes/workgroup (compile time only)
; SGPRBlocks: 3
; VGPRBlocks: 18
; NumSGPRsForWavesPerEU: 26
; NumVGPRsForWavesPerEU: 75
; Occupancy: 3
; WaveLimiterHint : 1
; COMPUTE_PGM_RSRC2:SCRATCH_EN: 0
; COMPUTE_PGM_RSRC2:USER_SGPR: 6
; COMPUTE_PGM_RSRC2:TRAP_HANDLER: 0
; COMPUTE_PGM_RSRC2:TGID_X_EN: 1
; COMPUTE_PGM_RSRC2:TGID_Y_EN: 0
; COMPUTE_PGM_RSRC2:TGID_Z_EN: 0
; COMPUTE_PGM_RSRC2:TIDIG_COMP_CNT: 0
	.type	__hip_cuid_3973255d4aa24579,@object ; @__hip_cuid_3973255d4aa24579
	.section	.bss,"aw",@nobits
	.globl	__hip_cuid_3973255d4aa24579
__hip_cuid_3973255d4aa24579:
	.byte	0                               ; 0x0
	.size	__hip_cuid_3973255d4aa24579, 1

	.ident	"AMD clang version 19.0.0git (https://github.com/RadeonOpenCompute/llvm-project roc-6.4.0 25133 c7fe45cf4b819c5991fe208aaa96edf142730f1d)"
	.section	".note.GNU-stack","",@progbits
	.addrsig
	.addrsig_sym __hip_cuid_3973255d4aa24579
	.amdgpu_metadata
---
amdhsa.kernels:
  - .args:
      - .actual_access:  read_only
        .address_space:  global
        .offset:         0
        .size:           8
        .value_kind:     global_buffer
      - .offset:         8
        .size:           8
        .value_kind:     by_value
      - .actual_access:  read_only
        .address_space:  global
        .offset:         16
        .size:           8
        .value_kind:     global_buffer
      - .actual_access:  read_only
        .address_space:  global
        .offset:         24
        .size:           8
        .value_kind:     global_buffer
      - .offset:         32
        .size:           8
        .value_kind:     by_value
      - .actual_access:  read_only
        .address_space:  global
        .offset:         40
        .size:           8
        .value_kind:     global_buffer
      - .actual_access:  read_only
        .address_space:  global
        .offset:         48
        .size:           8
        .value_kind:     global_buffer
      - .offset:         56
        .size:           4
        .value_kind:     by_value
      - .actual_access:  read_only
        .address_space:  global
        .offset:         64
        .size:           8
        .value_kind:     global_buffer
      - .actual_access:  read_only
        .address_space:  global
        .offset:         72
        .size:           8
        .value_kind:     global_buffer
      - .address_space:  global
        .offset:         80
        .size:           8
        .value_kind:     global_buffer
    .group_segment_fixed_size: 0
    .kernarg_segment_align: 8
    .kernarg_segment_size: 88
    .language:       OpenCL C
    .language_version:
      - 2
      - 0
    .max_flat_workgroup_size: 128
    .name:           fft_rtc_back_len2560_factors_4_4_4_10_4_wgs_128_tpt_128_halfLds_sp_ip_CI_unitstride_sbrr_C2R_dirReg
    .private_segment_fixed_size: 0
    .sgpr_count:     26
    .sgpr_spill_count: 0
    .symbol:         fft_rtc_back_len2560_factors_4_4_4_10_4_wgs_128_tpt_128_halfLds_sp_ip_CI_unitstride_sbrr_C2R_dirReg.kd
    .uniform_work_group_size: 1
    .uses_dynamic_stack: false
    .vgpr_count:     75
    .vgpr_spill_count: 0
    .wavefront_size: 64
amdhsa.target:   amdgcn-amd-amdhsa--gfx906
amdhsa.version:
  - 1
  - 2
...

	.end_amdgpu_metadata
